;; amdgpu-corpus repo=zjin-lcf/HeCBench kind=compiled arch=gfx1250 opt=O3
	.amdgcn_target "amdgcn-amd-amdhsa--gfx1250"
	.amdhsa_code_object_version 6
	.text
	.protected	_Z11binary_scanPiPKi    ; -- Begin function _Z11binary_scanPiPKi
	.globl	_Z11binary_scanPiPKi
	.p2align	8
	.type	_Z11binary_scanPiPKi,@function
_Z11binary_scanPiPKi:                   ; @_Z11binary_scanPiPKi
; %bb.0:
	s_load_b128 s[4:7], s[0:1], 0x0
	v_dual_lshrrev_b32 v2, 5, v0 :: v_dual_bitop2_b32 v3, 31, v0 bitop3:0x40
	s_wait_xcnt 0x0
	s_mov_b32 s1, exec_lo
	s_delay_alu instid0(VALU_DEP_1)
	v_lshlrev_b32_e32 v2, 2, v2
	s_wait_kmcnt 0x0
	global_load_b32 v1, v0, s[6:7] scale_offset
	s_wait_loadcnt 0x0
	v_cmp_lt_i32_e32 vcc_lo, 0, v1
	v_bfe_u32 v1, vcc_lo, 0, v3
	s_delay_alu instid0(VALU_DEP_1)
	v_bcnt_u32_b32 v1, v1, 0
	v_cmpx_eq_u32_e32 31, v3
; %bb.1:
	v_cndmask_b32_e64 v4, 0, 1, vcc_lo
	s_delay_alu instid0(VALU_DEP_1)
	v_add_nc_u32_e32 v4, v1, v4
	ds_store_b32 v2, v4
; %bb.2:
	s_or_b32 exec_lo, exec_lo, s1
	s_delay_alu instid0(SALU_CYCLE_1)
	s_mov_b32 s0, exec_lo
	s_wait_dscnt 0x0
	s_barrier_signal -1
	s_barrier_wait -1
	v_cmpx_gt_u32_e32 32, v0
	s_cbranch_execz .LBB0_4
; %bb.3:
	v_dual_lshlrev_b32 v12, 2, v0 :: v_dual_lshlrev_b32 v4, 1, v0
	s_mov_b64 s[2:3], src_shared_base
	s_delay_alu instid0(SALU_CYCLE_1) | instskip(SKIP_2) | instid1(VALU_DEP_1)
	v_mov_b32_e32 v5, s3
	ds_load_b32 v10, v12
	v_sub_nc_u32_e32 v3, v4, v3
	v_dual_mov_b32 v3, 0 :: v_dual_lshlrev_b32 v4, 2, v3
	v_dual_mov_b32 v7, s3 :: v_dual_mov_b32 v9, s3
	s_delay_alu instid0(VALU_DEP_2)
	v_add_nc_u32_e32 v8, 0x7c, v4
	v_add_nc_u32_e32 v6, 0x80, v4
	flat_store_b32 v[4:5], v3 scope:SCOPE_SYS
	s_wait_storecnt_dscnt 0x1
	flat_store_b32 v[6:7], v10 scope:SCOPE_SYS
	s_wait_storecnt 0x0
	flat_load_b32 v3, v[6:7] scope:SCOPE_SYS
	s_wait_loadcnt 0x0
	flat_load_b32 v10, v[8:9] scope:SCOPE_SYS
	s_wait_loadcnt_dscnt 0x0
	v_dual_mov_b32 v11, s3 :: v_dual_add_nc_u32 v3, v10, v3
	v_add_nc_u32_e32 v10, 0x78, v4
	flat_store_b32 v[6:7], v3 scope:SCOPE_SYS
	s_wait_storecnt 0x0
	flat_load_b32 v10, v[10:11] scope:SCOPE_SYS
	s_wait_loadcnt_dscnt 0x0
	v_add_nc_u32_e32 v3, v10, v3
	v_add_nc_u32_e32 v10, 0x70, v4
	;; [unrolled: 1-line block ×3, first 2 shown]
	flat_store_b32 v[6:7], v3 scope:SCOPE_SYS
	s_wait_storecnt 0x0
	flat_load_b32 v10, v[10:11] scope:SCOPE_SYS
	s_wait_loadcnt_dscnt 0x0
	v_add_nc_u32_e32 v3, v10, v3
	flat_store_b32 v[6:7], v3 scope:SCOPE_SYS
	s_wait_storecnt 0x0
	flat_load_b32 v4, v[4:5] scope:SCOPE_SYS
	s_wait_loadcnt_dscnt 0x0
	v_add_nc_u32_e32 v3, v4, v3
	flat_store_b32 v[6:7], v3 scope:SCOPE_SYS
	s_wait_storecnt 0x0
	flat_load_b32 v3, v[8:9] scope:SCOPE_SYS
	s_wait_loadcnt_dscnt 0x0
	ds_store_b32 v12, v3
.LBB0_4:
	s_or_b32 exec_lo, exec_lo, s0
	s_wait_dscnt 0x0
	s_barrier_signal -1
	s_barrier_wait -1
	ds_load_b32 v2, v2
	s_wait_dscnt 0x0
	v_add_nc_u32_e32 v1, v2, v1
	global_store_b32 v0, v1, s[4:5] scale_offset
	s_endpgm
	.section	.rodata,"a",@progbits
	.p2align	6, 0x0
	.amdhsa_kernel _Z11binary_scanPiPKi
		.amdhsa_group_segment_fixed_size 320
		.amdhsa_private_segment_fixed_size 0
		.amdhsa_kernarg_size 16
		.amdhsa_user_sgpr_count 2
		.amdhsa_user_sgpr_dispatch_ptr 0
		.amdhsa_user_sgpr_queue_ptr 0
		.amdhsa_user_sgpr_kernarg_segment_ptr 1
		.amdhsa_user_sgpr_dispatch_id 0
		.amdhsa_user_sgpr_kernarg_preload_length 0
		.amdhsa_user_sgpr_kernarg_preload_offset 0
		.amdhsa_user_sgpr_private_segment_size 0
		.amdhsa_wavefront_size32 1
		.amdhsa_uses_dynamic_stack 0
		.amdhsa_enable_private_segment 0
		.amdhsa_system_sgpr_workgroup_id_x 1
		.amdhsa_system_sgpr_workgroup_id_y 0
		.amdhsa_system_sgpr_workgroup_id_z 0
		.amdhsa_system_sgpr_workgroup_info 0
		.amdhsa_system_vgpr_workitem_id 0
		.amdhsa_next_free_vgpr 13
		.amdhsa_next_free_sgpr 8
		.amdhsa_named_barrier_count 0
		.amdhsa_reserve_vcc 1
		.amdhsa_float_round_mode_32 0
		.amdhsa_float_round_mode_16_64 0
		.amdhsa_float_denorm_mode_32 3
		.amdhsa_float_denorm_mode_16_64 3
		.amdhsa_fp16_overflow 0
		.amdhsa_memory_ordered 1
		.amdhsa_forward_progress 1
		.amdhsa_inst_pref_size 4
		.amdhsa_round_robin_scheduling 0
		.amdhsa_exception_fp_ieee_invalid_op 0
		.amdhsa_exception_fp_denorm_src 0
		.amdhsa_exception_fp_ieee_div_zero 0
		.amdhsa_exception_fp_ieee_overflow 0
		.amdhsa_exception_fp_ieee_underflow 0
		.amdhsa_exception_fp_ieee_inexact 0
		.amdhsa_exception_int_div_zero 0
	.end_amdhsa_kernel
	.text
.Lfunc_end0:
	.size	_Z11binary_scanPiPKi, .Lfunc_end0-_Z11binary_scanPiPKi
                                        ; -- End function
	.set _Z11binary_scanPiPKi.num_vgpr, 13
	.set _Z11binary_scanPiPKi.num_agpr, 0
	.set _Z11binary_scanPiPKi.numbered_sgpr, 8
	.set _Z11binary_scanPiPKi.num_named_barrier, 0
	.set _Z11binary_scanPiPKi.private_seg_size, 0
	.set _Z11binary_scanPiPKi.uses_vcc, 1
	.set _Z11binary_scanPiPKi.uses_flat_scratch, 0
	.set _Z11binary_scanPiPKi.has_dyn_sized_stack, 0
	.set _Z11binary_scanPiPKi.has_recursion, 0
	.set _Z11binary_scanPiPKi.has_indirect_call, 0
	.section	.AMDGPU.csdata,"",@progbits
; Kernel info:
; codeLenInByte = 512
; TotalNumSgprs: 10
; NumVgprs: 13
; ScratchSize: 0
; MemoryBound: 0
; FloatMode: 240
; IeeeMode: 1
; LDSByteSize: 320 bytes/workgroup (compile time only)
; SGPRBlocks: 0
; VGPRBlocks: 0
; NumSGPRsForWavesPerEU: 10
; NumVGPRsForWavesPerEU: 13
; NamedBarCnt: 0
; Occupancy: 16
; WaveLimiterHint : 0
; COMPUTE_PGM_RSRC2:SCRATCH_EN: 0
; COMPUTE_PGM_RSRC2:USER_SGPR: 2
; COMPUTE_PGM_RSRC2:TRAP_HANDLER: 0
; COMPUTE_PGM_RSRC2:TGID_X_EN: 1
; COMPUTE_PGM_RSRC2:TGID_Y_EN: 0
; COMPUTE_PGM_RSRC2:TGID_Z_EN: 0
; COMPUTE_PGM_RSRC2:TIDIG_COMP_CNT: 0
	.text
	.p2alignl 7, 3214868480
	.fill 96, 4, 3214868480
	.section	.AMDGPU.gpr_maximums,"",@progbits
	.set amdgpu.max_num_vgpr, 0
	.set amdgpu.max_num_agpr, 0
	.set amdgpu.max_num_sgpr, 0
	.text
	.type	__hip_cuid_86dd35faed7ece79,@object ; @__hip_cuid_86dd35faed7ece79
	.section	.bss,"aw",@nobits
	.globl	__hip_cuid_86dd35faed7ece79
__hip_cuid_86dd35faed7ece79:
	.byte	0                               ; 0x0
	.size	__hip_cuid_86dd35faed7ece79, 1

	.ident	"AMD clang version 22.0.0git (https://github.com/RadeonOpenCompute/llvm-project roc-7.2.4 26084 f58b06dce1f9c15707c5f808fd002e18c2accf7e)"
	.section	".note.GNU-stack","",@progbits
	.addrsig
	.addrsig_sym __hip_cuid_86dd35faed7ece79
	.amdgpu_metadata
---
amdhsa.kernels:
  - .args:
      - .actual_access:  write_only
        .address_space:  global
        .offset:         0
        .size:           8
        .value_kind:     global_buffer
      - .actual_access:  read_only
        .address_space:  global
        .offset:         8
        .size:           8
        .value_kind:     global_buffer
    .group_segment_fixed_size: 320
    .kernarg_segment_align: 8
    .kernarg_segment_size: 16
    .language:       OpenCL C
    .language_version:
      - 2
      - 0
    .max_flat_workgroup_size: 1024
    .name:           _Z11binary_scanPiPKi
    .private_segment_fixed_size: 0
    .sgpr_count:     10
    .sgpr_spill_count: 0
    .symbol:         _Z11binary_scanPiPKi.kd
    .uniform_work_group_size: 1
    .uses_dynamic_stack: false
    .vgpr_count:     13
    .vgpr_spill_count: 0
    .wavefront_size: 32
amdhsa.target:   amdgcn-amd-amdhsa--gfx1250
amdhsa.version:
  - 1
  - 2
...

	.end_amdgpu_metadata
